;; amdgpu-corpus repo=ROCm/rocFFT kind=compiled arch=gfx1100 opt=O3
	.text
	.amdgcn_target "amdgcn-amd-amdhsa--gfx1100"
	.amdhsa_code_object_version 6
	.protected	fft_rtc_fwd_len192_factors_8_6_4_wgs_480_tpt_48_half_ip_CI_sbcc_twdbase6_3step_dirReg_intrinsicReadWrite ; -- Begin function fft_rtc_fwd_len192_factors_8_6_4_wgs_480_tpt_48_half_ip_CI_sbcc_twdbase6_3step_dirReg_intrinsicReadWrite
	.globl	fft_rtc_fwd_len192_factors_8_6_4_wgs_480_tpt_48_half_ip_CI_sbcc_twdbase6_3step_dirReg_intrinsicReadWrite
	.p2align	8
	.type	fft_rtc_fwd_len192_factors_8_6_4_wgs_480_tpt_48_half_ip_CI_sbcc_twdbase6_3step_dirReg_intrinsicReadWrite,@function
fft_rtc_fwd_len192_factors_8_6_4_wgs_480_tpt_48_half_ip_CI_sbcc_twdbase6_3step_dirReg_intrinsicReadWrite: ; @fft_rtc_fwd_len192_factors_8_6_4_wgs_480_tpt_48_half_ip_CI_sbcc_twdbase6_3step_dirReg_intrinsicReadWrite
; %bb.0:
	s_load_b256 s[4:11], s[0:1], 0x8
	s_mov_b32 s18, s15
	s_mov_b32 s2, exec_lo
	v_cmpx_gt_u32_e32 0xc0, v0
	s_cbranch_execz .LBB0_2
; %bb.1:
	v_lshlrev_b32_e32 v1, 2, v0
	s_waitcnt lgkmcnt(0)
	global_load_b32 v2, v1, s[4:5]
	v_add_nc_u32_e32 v1, 0, v1
	s_waitcnt vmcnt(0)
	ds_store_b32 v1, v2 offset:7680
.LBB0_2:
	s_or_b32 exec_lo, exec_lo, s2
	s_waitcnt lgkmcnt(0)
	s_load_b64 s[16:17], s[8:9], 0x8
	s_mov_b64 s[22:23], 0
	s_waitcnt lgkmcnt(0)
	s_add_u32 s2, s16, -1
	s_addc_u32 s3, s17, -1
	s_add_u32 s4, 0, 0x99986000
	s_addc_u32 s5, 0, 0x59
	s_mul_hi_u32 s13, s4, -10
	s_add_i32 s5, s5, 0x19999940
	s_sub_i32 s13, s13, s4
	s_mul_i32 s15, s5, -10
	s_mul_i32 s12, s4, -10
	s_add_i32 s13, s13, s15
	s_mul_hi_u32 s14, s4, s12
	s_mul_i32 s20, s4, s13
	s_mul_hi_u32 s15, s4, s13
	s_mul_hi_u32 s19, s5, s12
	s_mul_i32 s12, s5, s12
	s_add_u32 s14, s14, s20
	s_addc_u32 s15, 0, s15
	s_mul_hi_u32 s21, s5, s13
	s_add_u32 s12, s14, s12
	s_mul_i32 s13, s5, s13
	s_addc_u32 s12, s15, s19
	s_addc_u32 s14, s21, 0
	s_add_u32 s12, s12, s13
	s_delay_alu instid0(SALU_CYCLE_1) | instskip(SKIP_3) | instid1(VALU_DEP_1)
	v_add_co_u32 v1, s4, s4, s12
	s_addc_u32 s12, 0, s14
	s_cmp_lg_u32 s4, 0
	s_addc_u32 s4, s5, s12
	v_readfirstlane_b32 s5, v1
	s_mul_i32 s13, s2, s4
	s_mul_hi_u32 s12, s2, s4
	s_mul_hi_u32 s14, s3, s4
	s_mul_i32 s4, s3, s4
	s_mul_hi_u32 s15, s2, s5
	s_mul_hi_u32 s19, s3, s5
	s_mul_i32 s5, s3, s5
	s_add_u32 s13, s15, s13
	s_addc_u32 s12, 0, s12
	s_add_u32 s5, s13, s5
	s_addc_u32 s5, s12, s19
	s_addc_u32 s12, s14, 0
	s_add_u32 s4, s5, s4
	s_addc_u32 s5, 0, s12
	s_mul_i32 s13, s4, 10
	s_add_u32 s12, s4, 1
	v_sub_co_u32 v1, s2, s2, s13
	s_mul_hi_u32 s13, s4, 10
	s_addc_u32 s14, s5, 0
	s_mul_i32 s15, s5, 10
	s_delay_alu instid0(VALU_DEP_1)
	v_sub_co_u32 v2, s19, v1, 10
	s_add_u32 s20, s4, 2
	s_addc_u32 s21, s5, 0
	s_add_i32 s13, s13, s15
	s_cmp_lg_u32 s2, 0
	v_readfirstlane_b32 s2, v2
	s_subb_u32 s3, s3, s13
	s_cmp_lg_u32 s19, 0
	s_mov_b32 s19, 0
	s_subb_u32 s13, s3, 0
	s_cmp_gt_u32 s2, 9
	s_cselect_b32 s2, -1, 0
	s_cmp_eq_u32 s13, 0
	v_readfirstlane_b32 s13, v1
	s_cselect_b32 s2, s2, -1
	s_delay_alu instid0(SALU_CYCLE_1)
	s_cmp_lg_u32 s2, 0
	s_cselect_b32 s2, s20, s12
	s_cselect_b32 s12, s21, s14
	s_cmp_gt_u32 s13, 9
	s_cselect_b32 s13, -1, 0
	s_cmp_eq_u32 s3, 0
	s_cselect_b32 s3, s13, -1
	s_delay_alu instid0(SALU_CYCLE_1) | instskip(SKIP_4) | instid1(SALU_CYCLE_1)
	s_cmp_lg_u32 s3, 0
	s_cselect_b32 s2, s2, s4
	s_cselect_b32 s3, s12, s5
	s_add_u32 s20, s2, 1
	s_addc_u32 s21, s3, 0
	v_cmp_lt_u64_e64 s2, s[18:19], s[20:21]
	s_delay_alu instid0(VALU_DEP_1)
	s_and_b32 vcc_lo, exec_lo, s2
	s_cbranch_vccnz .LBB0_4
; %bb.3:
	v_cvt_f32_u32_e32 v1, s20
	s_sub_i32 s3, 0, s20
	s_mov_b32 s23, s19
	s_delay_alu instid0(VALU_DEP_1) | instskip(SKIP_2) | instid1(VALU_DEP_1)
	v_rcp_iflag_f32_e32 v1, v1
	s_waitcnt_depctr 0xfff
	v_mul_f32_e32 v1, 0x4f7ffffe, v1
	v_cvt_u32_f32_e32 v1, v1
	s_delay_alu instid0(VALU_DEP_1) | instskip(NEXT) | instid1(VALU_DEP_1)
	v_readfirstlane_b32 s2, v1
	s_mul_i32 s3, s3, s2
	s_delay_alu instid0(SALU_CYCLE_1) | instskip(NEXT) | instid1(SALU_CYCLE_1)
	s_mul_hi_u32 s3, s2, s3
	s_add_i32 s2, s2, s3
	s_delay_alu instid0(SALU_CYCLE_1) | instskip(NEXT) | instid1(SALU_CYCLE_1)
	s_mul_hi_u32 s2, s18, s2
	s_mul_i32 s3, s2, s20
	s_add_i32 s4, s2, 1
	s_sub_i32 s3, s18, s3
	s_delay_alu instid0(SALU_CYCLE_1)
	s_sub_i32 s5, s3, s20
	s_cmp_ge_u32 s3, s20
	s_cselect_b32 s2, s4, s2
	s_cselect_b32 s3, s5, s3
	s_add_i32 s4, s2, 1
	s_cmp_ge_u32 s3, s20
	s_cselect_b32 s22, s4, s2
.LBB0_4:
	s_load_b128 s[12:15], s[10:11], 0x0
	s_clause 0x1
	s_load_b64 s[2:3], s[0:1], 0x58
	s_load_b64 s[4:5], s[0:1], 0x0
	s_mul_i32 s0, s22, s21
	s_mul_hi_u32 s1, s22, s20
	s_waitcnt lgkmcnt(0)
	s_mul_i32 s13, s22, s20
	s_add_i32 s1, s1, s0
	s_sub_u32 s33, s18, s13
	s_subb_u32 s0, 0, s1
	v_cmp_lt_u64_e64 s24, s[6:7], 3
	s_mul_hi_u32 s13, s33, 10
	s_mul_i32 s0, s0, 10
	s_mul_i32 s33, s33, 10
	s_add_i32 s13, s13, s0
	s_delay_alu instid0(VALU_DEP_1)
	s_and_b32 vcc_lo, exec_lo, s24
	s_mul_i32 s0, s14, s13
	s_mul_hi_u32 s1, s14, s33
	s_mul_i32 s24, s15, s33
	s_add_i32 s0, s1, s0
	s_mul_i32 s34, s14, s33
	s_add_i32 s35, s0, s24
	s_cbranch_vccnz .LBB0_14
; %bb.5:
	s_add_u32 s0, s10, 16
	s_addc_u32 s1, s11, 0
	s_add_u32 s8, s8, 16
	s_addc_u32 s9, s9, 0
	s_mov_b64 s[24:25], 2
	s_mov_b32 s26, 0
.LBB0_6:                                ; =>This Inner Loop Header: Depth=1
	s_load_b64 s[28:29], s[8:9], 0x0
	s_waitcnt lgkmcnt(0)
	s_or_b64 s[30:31], s[22:23], s[28:29]
	s_delay_alu instid0(SALU_CYCLE_1) | instskip(NEXT) | instid1(SALU_CYCLE_1)
	s_mov_b32 s27, s31
                                        ; implicit-def: $sgpr30_sgpr31
	s_cmp_lg_u64 s[26:27], 0
	s_mov_b32 s27, -1
	s_cbranch_scc0 .LBB0_8
; %bb.7:                                ;   in Loop: Header=BB0_6 Depth=1
	v_cvt_f32_u32_e32 v1, s28
	v_cvt_f32_u32_e32 v2, s29
	s_sub_u32 s31, 0, s28
	s_subb_u32 s36, 0, s29
	s_delay_alu instid0(VALU_DEP_1) | instskip(NEXT) | instid1(VALU_DEP_1)
	v_fmac_f32_e32 v1, 0x4f800000, v2
	v_rcp_f32_e32 v1, v1
	s_waitcnt_depctr 0xfff
	v_mul_f32_e32 v1, 0x5f7ffffc, v1
	s_delay_alu instid0(VALU_DEP_1) | instskip(NEXT) | instid1(VALU_DEP_1)
	v_mul_f32_e32 v2, 0x2f800000, v1
	v_trunc_f32_e32 v2, v2
	s_delay_alu instid0(VALU_DEP_1) | instskip(SKIP_1) | instid1(VALU_DEP_2)
	v_fmac_f32_e32 v1, 0xcf800000, v2
	v_cvt_u32_f32_e32 v2, v2
	v_cvt_u32_f32_e32 v1, v1
	s_delay_alu instid0(VALU_DEP_2) | instskip(NEXT) | instid1(VALU_DEP_2)
	v_readfirstlane_b32 s27, v2
	v_readfirstlane_b32 s30, v1
	s_delay_alu instid0(VALU_DEP_2) | instskip(NEXT) | instid1(VALU_DEP_1)
	s_mul_i32 s37, s31, s27
	s_mul_hi_u32 s39, s31, s30
	s_mul_i32 s38, s36, s30
	s_add_i32 s37, s39, s37
	s_mul_i32 s40, s31, s30
	s_add_i32 s37, s37, s38
	s_mul_hi_u32 s39, s30, s40
	s_mul_hi_u32 s41, s27, s40
	s_mul_i32 s38, s27, s40
	s_mul_hi_u32 s40, s30, s37
	s_mul_i32 s30, s30, s37
	s_mul_hi_u32 s42, s27, s37
	s_add_u32 s30, s39, s30
	s_addc_u32 s39, 0, s40
	s_add_u32 s30, s30, s38
	s_mul_i32 s37, s27, s37
	s_addc_u32 s30, s39, s41
	s_addc_u32 s38, s42, 0
	s_add_u32 s30, s30, s37
	s_addc_u32 s37, 0, s38
	v_add_co_u32 v1, s30, v1, s30
	s_delay_alu instid0(VALU_DEP_1) | instskip(SKIP_1) | instid1(VALU_DEP_1)
	s_cmp_lg_u32 s30, 0
	s_addc_u32 s27, s27, s37
	v_readfirstlane_b32 s30, v1
	s_mul_i32 s37, s31, s27
	s_delay_alu instid0(VALU_DEP_1)
	s_mul_hi_u32 s38, s31, s30
	s_mul_i32 s36, s36, s30
	s_add_i32 s37, s38, s37
	s_mul_i32 s31, s31, s30
	s_add_i32 s37, s37, s36
	s_mul_hi_u32 s38, s27, s31
	s_mul_i32 s39, s27, s31
	s_mul_hi_u32 s31, s30, s31
	s_mul_hi_u32 s40, s30, s37
	s_mul_i32 s30, s30, s37
	s_mul_hi_u32 s36, s27, s37
	s_add_u32 s30, s31, s30
	s_addc_u32 s31, 0, s40
	s_add_u32 s30, s30, s39
	s_mul_i32 s37, s27, s37
	s_addc_u32 s30, s31, s38
	s_addc_u32 s31, s36, 0
	s_add_u32 s30, s30, s37
	s_addc_u32 s31, 0, s31
	v_add_co_u32 v1, s30, v1, s30
	s_delay_alu instid0(VALU_DEP_1) | instskip(SKIP_1) | instid1(VALU_DEP_1)
	s_cmp_lg_u32 s30, 0
	s_addc_u32 s27, s27, s31
	v_readfirstlane_b32 s30, v1
	s_mul_i32 s36, s22, s27
	s_mul_hi_u32 s31, s22, s27
	s_mul_hi_u32 s37, s23, s27
	s_mul_i32 s27, s23, s27
	s_mul_hi_u32 s38, s22, s30
	s_mul_hi_u32 s39, s23, s30
	s_mul_i32 s30, s23, s30
	s_add_u32 s36, s38, s36
	s_addc_u32 s31, 0, s31
	s_add_u32 s30, s36, s30
	s_addc_u32 s30, s31, s39
	s_addc_u32 s31, s37, 0
	s_add_u32 s30, s30, s27
	s_addc_u32 s31, 0, s31
	s_mul_hi_u32 s27, s28, s30
	s_mul_i32 s37, s28, s31
	s_mul_i32 s38, s28, s30
	s_add_i32 s27, s27, s37
	v_sub_co_u32 v1, s37, s22, s38
	s_mul_i32 s36, s29, s30
	s_delay_alu instid0(SALU_CYCLE_1) | instskip(NEXT) | instid1(VALU_DEP_1)
	s_add_i32 s27, s27, s36
	v_sub_co_u32 v2, s38, v1, s28
	s_sub_i32 s36, s23, s27
	s_cmp_lg_u32 s37, 0
	s_subb_u32 s36, s36, s29
	s_cmp_lg_u32 s38, 0
	v_readfirstlane_b32 s38, v2
	s_subb_u32 s36, s36, 0
	s_delay_alu instid0(SALU_CYCLE_1) | instskip(SKIP_1) | instid1(VALU_DEP_1)
	s_cmp_ge_u32 s36, s29
	s_cselect_b32 s39, -1, 0
	s_cmp_ge_u32 s38, s28
	s_cselect_b32 s38, -1, 0
	s_cmp_eq_u32 s36, s29
	s_cselect_b32 s36, s38, s39
	s_add_u32 s38, s30, 1
	s_addc_u32 s39, s31, 0
	s_add_u32 s40, s30, 2
	s_addc_u32 s41, s31, 0
	s_cmp_lg_u32 s36, 0
	s_cselect_b32 s36, s40, s38
	s_cselect_b32 s38, s41, s39
	s_cmp_lg_u32 s37, 0
	v_readfirstlane_b32 s37, v1
	s_subb_u32 s27, s23, s27
	s_delay_alu instid0(SALU_CYCLE_1) | instskip(SKIP_1) | instid1(VALU_DEP_1)
	s_cmp_ge_u32 s27, s29
	s_cselect_b32 s39, -1, 0
	s_cmp_ge_u32 s37, s28
	s_cselect_b32 s37, -1, 0
	s_cmp_eq_u32 s27, s29
	s_cselect_b32 s27, s37, s39
	s_delay_alu instid0(SALU_CYCLE_1)
	s_cmp_lg_u32 s27, 0
	s_mov_b32 s27, 0
	s_cselect_b32 s31, s38, s31
	s_cselect_b32 s30, s36, s30
.LBB0_8:                                ;   in Loop: Header=BB0_6 Depth=1
	s_and_not1_b32 vcc_lo, exec_lo, s27
	s_cbranch_vccnz .LBB0_10
; %bb.9:                                ;   in Loop: Header=BB0_6 Depth=1
	v_cvt_f32_u32_e32 v1, s28
	s_sub_i32 s30, 0, s28
	s_waitcnt_depctr 0xfff
	v_rcp_iflag_f32_e32 v1, v1
	s_waitcnt_depctr 0xfff
	v_mul_f32_e32 v1, 0x4f7ffffe, v1
	s_delay_alu instid0(VALU_DEP_1) | instskip(NEXT) | instid1(VALU_DEP_1)
	v_cvt_u32_f32_e32 v1, v1
	v_readfirstlane_b32 s27, v1
	s_delay_alu instid0(VALU_DEP_1) | instskip(NEXT) | instid1(SALU_CYCLE_1)
	s_mul_i32 s30, s30, s27
	s_mul_hi_u32 s30, s27, s30
	s_delay_alu instid0(SALU_CYCLE_1) | instskip(NEXT) | instid1(SALU_CYCLE_1)
	s_add_i32 s27, s27, s30
	s_mul_hi_u32 s27, s22, s27
	s_delay_alu instid0(SALU_CYCLE_1) | instskip(SKIP_2) | instid1(SALU_CYCLE_1)
	s_mul_i32 s30, s27, s28
	s_add_i32 s31, s27, 1
	s_sub_i32 s30, s22, s30
	s_sub_i32 s36, s30, s28
	s_cmp_ge_u32 s30, s28
	s_cselect_b32 s27, s31, s27
	s_cselect_b32 s30, s36, s30
	s_add_i32 s31, s27, 1
	s_cmp_ge_u32 s30, s28
	s_cselect_b32 s30, s31, s27
	s_mov_b32 s31, s26
.LBB0_10:                               ;   in Loop: Header=BB0_6 Depth=1
	s_load_b64 s[36:37], s[0:1], 0x0
	s_mul_i32 s21, s28, s21
	s_mul_hi_u32 s27, s28, s20
	s_mul_i32 s38, s29, s20
	s_mul_i32 s29, s30, s29
	s_mul_hi_u32 s39, s30, s28
	s_mul_i32 s40, s31, s28
	s_add_i32 s21, s27, s21
	s_add_i32 s27, s39, s29
	s_mul_i32 s41, s30, s28
	s_add_i32 s21, s21, s38
	s_add_i32 s27, s27, s40
	s_sub_u32 s22, s22, s41
	s_subb_u32 s23, s23, s27
	s_mul_i32 s20, s28, s20
	s_waitcnt lgkmcnt(0)
	s_mul_i32 s23, s36, s23
	s_mul_hi_u32 s27, s36, s22
	s_delay_alu instid0(SALU_CYCLE_1)
	s_add_i32 s23, s27, s23
	s_mul_i32 s27, s37, s22
	s_mul_i32 s22, s36, s22
	s_add_i32 s23, s23, s27
	s_add_u32 s34, s22, s34
	s_addc_u32 s35, s23, s35
	s_add_u32 s24, s24, 1
	s_addc_u32 s25, s25, 0
	s_add_u32 s0, s0, 8
	v_cmp_ge_u64_e64 s22, s[24:25], s[6:7]
	s_addc_u32 s1, s1, 0
	s_add_u32 s8, s8, 8
	s_addc_u32 s9, s9, 0
	s_delay_alu instid0(VALU_DEP_1)
	s_and_b32 vcc_lo, exec_lo, s22
	s_cbranch_vccnz .LBB0_12
; %bb.11:                               ;   in Loop: Header=BB0_6 Depth=1
	s_mov_b64 s[22:23], s[30:31]
	s_branch .LBB0_6
.LBB0_12:
	v_cmp_lt_u64_e64 s0, s[18:19], s[20:21]
	s_mov_b64 s[22:23], 0
	s_delay_alu instid0(VALU_DEP_1)
	s_and_b32 vcc_lo, exec_lo, s0
	s_cbranch_vccnz .LBB0_14
; %bb.13:
	v_cvt_f32_u32_e32 v1, s20
	s_sub_i32 s1, 0, s20
	s_delay_alu instid0(VALU_DEP_1) | instskip(SKIP_2) | instid1(VALU_DEP_1)
	v_rcp_iflag_f32_e32 v1, v1
	s_waitcnt_depctr 0xfff
	v_mul_f32_e32 v1, 0x4f7ffffe, v1
	v_cvt_u32_f32_e32 v1, v1
	s_delay_alu instid0(VALU_DEP_1) | instskip(NEXT) | instid1(VALU_DEP_1)
	v_readfirstlane_b32 s0, v1
	s_mul_i32 s1, s1, s0
	s_delay_alu instid0(SALU_CYCLE_1) | instskip(NEXT) | instid1(SALU_CYCLE_1)
	s_mul_hi_u32 s1, s0, s1
	s_add_i32 s0, s0, s1
	s_delay_alu instid0(SALU_CYCLE_1) | instskip(NEXT) | instid1(SALU_CYCLE_1)
	s_mul_hi_u32 s0, s18, s0
	s_mul_i32 s1, s0, s20
	s_add_i32 s8, s0, 1
	s_sub_i32 s1, s18, s1
	s_delay_alu instid0(SALU_CYCLE_1)
	s_sub_i32 s9, s1, s20
	s_cmp_ge_u32 s1, s20
	s_cselect_b32 s0, s8, s0
	s_cselect_b32 s1, s9, s1
	s_add_i32 s8, s0, 1
	s_cmp_ge_u32 s1, s20
	s_cselect_b32 s22, s8, s0
.LBB0_14:
	s_lshl_b64 s[0:1], s[6:7], 3
	v_mul_hi_u32 v10, 0x1999999a, v0
	s_add_u32 s0, s10, s0
	s_addc_u32 s1, s11, s1
	v_cmp_gt_u32_e32 vcc_lo, 0xf0, v0
	s_load_b64 s[6:7], s[0:1], 0x0
	v_cmp_lt_u32_e64 s0, 0xef, v0
	v_cndmask_b32_e64 v5, 0, 1, vcc_lo
	s_delay_alu instid0(VALU_DEP_4) | instskip(NEXT) | instid1(VALU_DEP_1)
	v_mul_u32_u24_e32 v1, 10, v10
	v_sub_nc_u32_e32 v11, v0, v1
	s_delay_alu instid0(VALU_DEP_1) | instskip(SKIP_3) | instid1(VALU_DEP_1)
	v_mad_u64_u32 v[3:4], null, s14, v11, 0
	s_waitcnt lgkmcnt(0)
	s_mul_i32 s1, s6, s22
	v_add_co_u32 v1, s6, s33, v11
	v_add_co_ci_u32_e64 v2, null, s13, 0, s6
	s_add_u32 s6, s1, s34
	s_add_u32 s8, s33, 10
	s_addc_u32 s9, s13, 0
	s_delay_alu instid0(VALU_DEP_1) | instskip(SKIP_2) | instid1(VALU_DEP_2)
	v_cmp_gt_u64_e32 vcc_lo, s[16:17], v[1:2]
	v_cmp_le_u64_e64 s7, s[8:9], s[16:17]
	v_cndmask_b32_e64 v2, 0, 1, vcc_lo
	s_or_b32 s0, s0, s7
	s_delay_alu instid0(VALU_DEP_1) | instid1(SALU_CYCLE_1)
	v_cndmask_b32_e64 v5, v2, v5, s0
	v_mov_b32_e32 v2, v4
	s_delay_alu instid0(VALU_DEP_2) | instskip(NEXT) | instid1(VALU_DEP_2)
	v_and_b32_e32 v6, 1, v5
	v_mad_u64_u32 v[4:5], null, s15, v11, v[2:3]
	v_mov_b32_e32 v2, 0
	v_mov_b32_e32 v4, 0
	s_delay_alu instid0(VALU_DEP_4) | instskip(NEXT) | instid1(VALU_DEP_1)
	v_cmp_eq_u32_e64 s0, 1, v6
	s_and_saveexec_b32 s8, s0
	s_cbranch_execz .LBB0_16
; %bb.15:
	v_mul_lo_u32 v4, s12, v10
	v_mov_b32_e32 v5, 0
	s_delay_alu instid0(VALU_DEP_2) | instskip(NEXT) | instid1(VALU_DEP_1)
	v_add3_u32 v4, s6, v3, v4
	v_lshlrev_b64 v[4:5], 2, v[4:5]
	s_delay_alu instid0(VALU_DEP_1) | instskip(NEXT) | instid1(VALU_DEP_1)
	v_add_co_u32 v4, s1, s2, v4
	v_add_co_ci_u32_e64 v5, s1, s3, v5, s1
	global_load_b32 v4, v[4:5], off
.LBB0_16:
	s_or_b32 exec_lo, exec_lo, s8
	s_and_saveexec_b32 s8, s0
	s_cbranch_execz .LBB0_18
; %bb.17:
	v_add_nc_u32_e32 v2, 24, v10
	v_mov_b32_e32 v6, 0
	s_delay_alu instid0(VALU_DEP_2) | instskip(NEXT) | instid1(VALU_DEP_1)
	v_mul_lo_u32 v2, s12, v2
	v_add3_u32 v5, s6, v3, v2
	s_delay_alu instid0(VALU_DEP_1) | instskip(NEXT) | instid1(VALU_DEP_1)
	v_lshlrev_b64 v[5:6], 2, v[5:6]
	v_add_co_u32 v5, s1, s2, v5
	s_delay_alu instid0(VALU_DEP_1)
	v_add_co_ci_u32_e64 v6, s1, s3, v6, s1
	global_load_b32 v2, v[5:6], off
.LBB0_18:
	s_or_b32 exec_lo, exec_lo, s8
	v_dual_mov_b32 v5, 0 :: v_dual_mov_b32 v6, 0
	s_and_saveexec_b32 s8, s0
	s_cbranch_execz .LBB0_20
; %bb.19:
	v_dual_mov_b32 v7, 0 :: v_dual_add_nc_u32 v6, 48, v10
	s_delay_alu instid0(VALU_DEP_1) | instskip(NEXT) | instid1(VALU_DEP_1)
	v_mul_lo_u32 v6, s12, v6
	v_add3_u32 v6, s6, v3, v6
	s_delay_alu instid0(VALU_DEP_1) | instskip(NEXT) | instid1(VALU_DEP_1)
	v_lshlrev_b64 v[6:7], 2, v[6:7]
	v_add_co_u32 v6, s1, s2, v6
	s_delay_alu instid0(VALU_DEP_1)
	v_add_co_ci_u32_e64 v7, s1, s3, v7, s1
	global_load_b32 v6, v[6:7], off
.LBB0_20:
	s_or_b32 exec_lo, exec_lo, s8
	s_and_saveexec_b32 s8, s0
	s_cbranch_execz .LBB0_22
; %bb.21:
	v_dual_mov_b32 v8, 0 :: v_dual_add_nc_u32 v5, 0x48, v10
	s_delay_alu instid0(VALU_DEP_1) | instskip(NEXT) | instid1(VALU_DEP_1)
	v_mul_lo_u32 v5, s12, v5
	v_add3_u32 v7, s6, v3, v5
	s_delay_alu instid0(VALU_DEP_1) | instskip(NEXT) | instid1(VALU_DEP_1)
	v_lshlrev_b64 v[7:8], 2, v[7:8]
	v_add_co_u32 v7, s1, s2, v7
	s_delay_alu instid0(VALU_DEP_1)
	v_add_co_ci_u32_e64 v8, s1, s3, v8, s1
	global_load_b32 v5, v[7:8], off
.LBB0_22:
	s_or_b32 exec_lo, exec_lo, s8
	v_dual_mov_b32 v7, 0 :: v_dual_mov_b32 v8, 0
	s_and_saveexec_b32 s8, s0
	s_cbranch_execz .LBB0_24
; %bb.23:
	v_dual_mov_b32 v9, 0 :: v_dual_add_nc_u32 v8, 0x60, v10
	s_delay_alu instid0(VALU_DEP_1) | instskip(NEXT) | instid1(VALU_DEP_1)
	v_mul_lo_u32 v8, s12, v8
	v_add3_u32 v8, s6, v3, v8
	s_delay_alu instid0(VALU_DEP_1) | instskip(NEXT) | instid1(VALU_DEP_1)
	v_lshlrev_b64 v[8:9], 2, v[8:9]
	v_add_co_u32 v8, s1, s2, v8
	s_delay_alu instid0(VALU_DEP_1)
	v_add_co_ci_u32_e64 v9, s1, s3, v9, s1
	global_load_b32 v8, v[8:9], off
.LBB0_24:
	s_or_b32 exec_lo, exec_lo, s8
	s_and_saveexec_b32 s8, s0
	s_cbranch_execz .LBB0_26
; %bb.25:
	v_add_nc_u32_e32 v7, 0x78, v10
	v_mov_b32_e32 v13, 0
	s_delay_alu instid0(VALU_DEP_2) | instskip(NEXT) | instid1(VALU_DEP_1)
	v_mul_lo_u32 v7, s12, v7
	v_add3_u32 v12, s6, v3, v7
	s_delay_alu instid0(VALU_DEP_1) | instskip(NEXT) | instid1(VALU_DEP_1)
	v_lshlrev_b64 v[12:13], 2, v[12:13]
	v_add_co_u32 v12, s1, s2, v12
	s_delay_alu instid0(VALU_DEP_1)
	v_add_co_ci_u32_e64 v13, s1, s3, v13, s1
	global_load_b32 v7, v[12:13], off
.LBB0_26:
	s_or_b32 exec_lo, exec_lo, s8
	v_dual_mov_b32 v9, 0 :: v_dual_mov_b32 v12, 0
	s_and_saveexec_b32 s8, s0
	s_cbranch_execz .LBB0_28
; %bb.27:
	v_dual_mov_b32 v13, 0 :: v_dual_add_nc_u32 v12, 0x90, v10
	s_delay_alu instid0(VALU_DEP_1) | instskip(NEXT) | instid1(VALU_DEP_1)
	v_mul_lo_u32 v12, s12, v12
	v_add3_u32 v12, s6, v3, v12
	s_delay_alu instid0(VALU_DEP_1) | instskip(NEXT) | instid1(VALU_DEP_1)
	v_lshlrev_b64 v[12:13], 2, v[12:13]
	v_add_co_u32 v12, s1, s2, v12
	s_delay_alu instid0(VALU_DEP_1)
	v_add_co_ci_u32_e64 v13, s1, s3, v13, s1
	global_load_b32 v12, v[12:13], off
.LBB0_28:
	s_or_b32 exec_lo, exec_lo, s8
	s_and_saveexec_b32 s1, s0
	s_cbranch_execz .LBB0_30
; %bb.29:
	v_dual_mov_b32 v14, 0 :: v_dual_add_nc_u32 v9, 0xa8, v10
	s_delay_alu instid0(VALU_DEP_1) | instskip(NEXT) | instid1(VALU_DEP_1)
	v_mul_lo_u32 v9, s12, v9
	v_add3_u32 v13, s6, v3, v9
	s_delay_alu instid0(VALU_DEP_1) | instskip(NEXT) | instid1(VALU_DEP_1)
	v_lshlrev_b64 v[13:14], 2, v[13:14]
	v_add_co_u32 v13, s0, s2, v13
	s_delay_alu instid0(VALU_DEP_1)
	v_add_co_ci_u32_e64 v14, s0, s3, v14, s0
	global_load_b32 v9, v[13:14], off
.LBB0_30:
	s_or_b32 exec_lo, exec_lo, s1
	s_waitcnt vmcnt(0)
	v_pk_add_f16 v8, v4, v8 neg_lo:[0,1] neg_hi:[0,1]
	v_pk_add_f16 v12, v6, v12 op_sel:[1,1] op_sel_hi:[0,0] neg_lo:[0,1] neg_hi:[0,1]
	v_pk_add_f16 v7, v2, v7 neg_lo:[0,1] neg_hi:[0,1]
	v_pk_add_f16 v9, v5, v9 op_sel:[1,1] op_sel_hi:[0,0] neg_lo:[0,1] neg_hi:[0,1]
	s_mov_b32 s1, exec_lo
	v_pk_fma_f16 v4, v4, 2.0, v8 op_sel_hi:[1,0,1] neg_lo:[0,0,1] neg_hi:[0,0,1]
	v_pk_add_f16 v13, v8, v12 neg_lo:[0,1] neg_hi:[0,1]
	v_pk_add_f16 v16, v8, v12
	v_pk_add_f16 v14, v7, v9 neg_lo:[0,1] neg_hi:[0,1]
	v_pk_add_f16 v15, v7, v9
	v_pk_fma_f16 v6, v6, 2.0, v12 op_sel:[1,0,0] op_sel_hi:[0,0,1] neg_lo:[0,0,1] neg_hi:[0,0,1]
	v_pk_fma_f16 v2, v2, 2.0, v7 op_sel_hi:[1,0,1] neg_lo:[0,0,1] neg_hi:[0,0,1]
	v_bfi_b32 v18, 0xffff, v13, v16
	v_pk_fma_f16 v5, v5, 2.0, v9 op_sel:[1,0,0] op_sel_hi:[0,0,1] neg_lo:[0,0,1] neg_hi:[0,0,1]
	v_bfi_b32 v12, 0xffff, v14, v15
	v_pk_add_f16 v9, v4, v6 op_sel:[0,1] op_sel_hi:[1,0] neg_lo:[0,1] neg_hi:[0,1]
	s_delay_alu instid0(VALU_DEP_4) | instskip(NEXT) | instid1(VALU_DEP_4)
	v_pk_fma_f16 v8, v8, 2.0, v18 op_sel_hi:[1,0,1] neg_lo:[0,0,1] neg_hi:[0,0,1]
	v_pk_add_f16 v5, v2, v5 op_sel:[1,0] op_sel_hi:[0,1] neg_lo:[0,1] neg_hi:[0,1]
	s_delay_alu instid0(VALU_DEP_4) | instskip(NEXT) | instid1(VALU_DEP_4)
	v_pk_fma_f16 v7, v7, 2.0, v12 op_sel_hi:[1,0,1] neg_lo:[0,0,1] neg_hi:[0,0,1]
	v_pk_fma_f16 v4, v4, 2.0, v9 op_sel_hi:[1,0,1] neg_lo:[0,0,1] neg_hi:[0,0,1]
	v_pk_mul_f16 v14, 0x39a8, v12 op_sel_hi:[0,1]
	v_pk_fma_f16 v12, 0x39a8, v12, v18 op_sel_hi:[0,1,1]
	v_pk_fma_f16 v2, v2, 2.0, v5 op_sel:[1,0,0] op_sel_hi:[0,0,1] neg_lo:[0,0,1] neg_hi:[0,0,1]
	v_pk_mul_f16 v6, 0x39a8, v7 op_sel_hi:[0,1]
	v_pk_fma_f16 v13, 0x39a8, v7, v8 op_sel_hi:[0,1,1] neg_lo:[0,1,0] neg_hi:[0,1,0]
	v_lshrrev_b32_e32 v19, 16, v4
	v_pk_add_f16 v17, v12, v14 op_sel:[0,1] op_sel_hi:[1,0] neg_lo:[0,1] neg_hi:[0,1]
	v_pk_add_f16 v12, v12, v14 op_sel:[0,1] op_sel_hi:[1,0]
	s_delay_alu instid0(VALU_DEP_4)
	v_pk_add_f16 v7, v13, v6 op_sel:[0,1] op_sel_hi:[1,0] neg_lo:[0,1] neg_hi:[0,1]
	v_pk_add_f16 v15, v13, v6 op_sel:[0,1] op_sel_hi:[1,0]
	v_pk_add_f16 v6, v4, v2 op_sel:[0,1] op_sel_hi:[1,0] neg_lo:[0,1] neg_hi:[0,1]
	v_pk_add_f16 v2, v9, v5 neg_lo:[0,1] neg_hi:[0,1]
	v_pk_add_f16 v5, v9, v5
	v_bfi_b32 v17, 0xffff, v17, v12
	v_bfi_b32 v14, 0xffff, v7, v15
	v_lshrrev_b32_e32 v13, 16, v6
	v_fma_f16 v4, v4, 2.0, -v6
	v_bfi_b32 v16, 0xffff, v2, v5
	v_lshlrev_b32_e32 v2, 2, v11
	v_pk_fma_f16 v5, v8, 2.0, v14 op_sel_hi:[1,0,1] neg_lo:[0,0,1] neg_hi:[0,0,1]
	v_fma_f16 v12, v19, 2.0, -v13
	s_delay_alu instid0(VALU_DEP_4)
	v_pk_fma_f16 v8, v9, 2.0, v16 op_sel_hi:[1,0,1] neg_lo:[0,0,1] neg_hi:[0,0,1]
	v_pk_fma_f16 v9, v18, 2.0, v17 op_sel_hi:[1,0,1] neg_lo:[0,0,1] neg_hi:[0,0,1]
	v_cmpx_gt_u32_e32 0xf0, v0
	s_cbranch_execz .LBB0_32
; %bb.31:
	v_mul_u32_u24_e32 v11, 0x50, v10
	v_and_b32_e32 v18, 0xffff, v4
	v_lshlrev_b32_e32 v19, 16, v12
	s_delay_alu instid0(VALU_DEP_3) | instskip(NEXT) | instid1(VALU_DEP_2)
	v_lshlrev_b32_e32 v11, 2, v11
	v_or_b32_e32 v18, v19, v18
	s_delay_alu instid0(VALU_DEP_2)
	v_add3_u32 v11, 0, v11, v2
	ds_store_2addr_b32 v11, v18, v5 offset1:10
	ds_store_2addr_b32 v11, v8, v9 offset0:20 offset1:30
	ds_store_2addr_b32 v11, v6, v14 offset0:40 offset1:50
	;; [unrolled: 1-line block ×3, first 2 shown]
.LBB0_32:
	s_or_b32 exec_lo, exec_lo, s1
	v_cmp_gt_u32_e64 s0, 0x140, v0
	v_lshrrev_b32_e32 v14, 16, v5
	v_lshrrev_b32_e32 v17, 16, v15
	;; [unrolled: 1-line block ×4, first 2 shown]
	v_mul_u32_u24_e32 v11, 40, v10
	s_waitcnt lgkmcnt(0)
	s_barrier
	buffer_gl0_inv
	s_and_saveexec_b32 s1, s0
	s_cbranch_execz .LBB0_34
; %bb.33:
	v_add3_u32 v6, 0, v11, v2
	ds_load_2addr_stride64_b32 v[4:5], v6 offset1:5
	ds_load_2addr_stride64_b32 v[8:9], v6 offset0:10 offset1:15
	ds_load_2addr_stride64_b32 v[6:7], v6 offset0:20 offset1:25
	s_waitcnt lgkmcnt(2)
	v_lshrrev_b32_e32 v14, 16, v5
	s_waitcnt lgkmcnt(1)
	v_lshrrev_b32_e32 v16, 16, v8
	v_lshrrev_b32_e32 v15, 16, v9
	s_waitcnt lgkmcnt(0)
	v_lshrrev_b32_e32 v13, 16, v6
	v_lshrrev_b32_e32 v17, 16, v7
	v_lshrrev_b32_e32 v12, 16, v4
.LBB0_34:
	s_or_b32 exec_lo, exec_lo, s1
	s_barrier
	buffer_gl0_inv
	s_and_saveexec_b32 s1, s0
	s_cbranch_execz .LBB0_36
; %bb.35:
	v_and_b32_e32 v22, 7, v10
	v_lshrrev_b32_e32 v24, 3, v10
	s_delay_alu instid0(VALU_DEP_2) | instskip(NEXT) | instid1(VALU_DEP_2)
	v_mul_u32_u24_e32 v18, 5, v22
	v_mul_u32_u24_e32 v24, 48, v24
	s_delay_alu instid0(VALU_DEP_2) | instskip(NEXT) | instid1(VALU_DEP_2)
	v_lshlrev_b32_e32 v23, 2, v18
	v_or_b32_e32 v22, v24, v22
	s_clause 0x1
	global_load_b128 v[18:21], v23, s[4:5]
	global_load_b32 v23, v23, s[4:5] offset:16
	v_mul_u32_u24_e32 v22, 40, v22
	s_delay_alu instid0(VALU_DEP_1) | instskip(NEXT) | instid1(VALU_DEP_1)
	v_add3_u32 v22, 0, v22, v2
	v_add_nc_u32_e32 v24, 0x400, v22
	s_waitcnt vmcnt(1)
	v_lshrrev_b32_e32 v25, 16, v19
	v_lshrrev_b32_e32 v26, 16, v21
	;; [unrolled: 1-line block ×3, first 2 shown]
	s_waitcnt vmcnt(0)
	v_lshrrev_b32_e32 v29, 16, v23
	v_lshrrev_b32_e32 v27, 16, v18
	v_mul_f16_e32 v30, v16, v25
	v_mul_f16_e32 v31, v13, v26
	;; [unrolled: 1-line block ×10, first 2 shown]
	v_fmac_f16_e32 v25, v16, v19
	v_fmac_f16_e32 v26, v13, v21
	v_fma_f16 v9, v9, v20, -v33
	v_fma_f16 v7, v7, v23, -v34
	v_fmac_f16_e32 v28, v15, v20
	v_fmac_f16_e32 v29, v17, v23
	v_fma_f16 v5, v5, v18, -v32
	v_fmac_f16_e32 v27, v14, v18
	v_add_f16_e32 v14, v25, v26
	v_add_f16_e32 v15, v9, v7
	;; [unrolled: 1-line block ×3, first 2 shown]
	v_fma_f16 v8, v8, v19, -v30
	v_fma_f16 v6, v6, v21, -v31
	v_sub_f16_e32 v16, v28, v29
	v_sub_f16_e32 v17, v9, v7
	v_add_f16_e32 v19, v12, v25
	v_add_f16_e32 v9, v5, v9
	v_fma_f16 v12, -0.5, v14, v12
	v_fma_f16 v5, -0.5, v15, v5
	;; [unrolled: 1-line block ×3, first 2 shown]
	v_sub_f16_e32 v13, v8, v6
	v_add_f16_e32 v20, v27, v28
	v_add_f16_e32 v21, v8, v6
	;; [unrolled: 1-line block ×5, first 2 shown]
	v_fmamk_f16 v9, v16, 0xbaee, v5
	v_fmamk_f16 v19, v17, 0x3aee, v14
	v_fmac_f16_e32 v14, 0xbaee, v17
	v_fmac_f16_e32 v5, 0x3aee, v16
	v_add_f16_e32 v18, v20, v29
	v_add_f16_e32 v6, v8, v6
	v_sub_f16_e32 v23, v25, v26
	v_fma_f16 v4, -0.5, v21, v4
	v_mul_f16_e32 v20, 0xbaee, v5
	v_mul_f16_e32 v21, 0x3aee, v14
	v_fmamk_f16 v8, v13, 0x3aee, v12
	v_fmac_f16_e32 v12, 0xbaee, v13
	v_sub_f16_e32 v13, v15, v18
	v_sub_f16_e32 v17, v6, v7
	v_add_f16_e32 v15, v15, v18
	v_mul_f16_e32 v18, -0.5, v19
	v_add_f16_e32 v6, v6, v7
	v_mul_f16_e32 v7, -0.5, v9
	v_fmamk_f16 v16, v23, 0xbaee, v4
	v_fmac_f16_e32 v4, 0x3aee, v23
	v_fmac_f16_e32 v20, 0.5, v14
	v_fmac_f16_e32 v21, 0.5, v5
	v_fmac_f16_e32 v18, 0xbaee, v9
	v_fmac_f16_e32 v7, 0x3aee, v19
	v_pack_b32_f16 v6, v6, v15
	v_sub_f16_e32 v9, v12, v20
	v_add_f16_e32 v12, v12, v20
	v_add_f16_e32 v14, v4, v21
	v_sub_f16_e32 v5, v8, v18
	v_add_f16_e32 v8, v8, v18
	v_add_f16_e32 v15, v16, v7
	v_sub_f16_e32 v4, v4, v21
	v_sub_f16_e32 v7, v16, v7
	v_pack_b32_f16 v12, v14, v12
	v_pack_b32_f16 v13, v17, v13
	;; [unrolled: 1-line block ×5, first 2 shown]
	ds_store_2addr_b32 v22, v6, v12 offset1:80
	ds_store_2addr_b32 v22, v8, v13 offset0:160 offset1:240
	ds_store_2addr_b32 v24, v4, v5 offset0:64 offset1:144
.LBB0_36:
	s_or_b32 exec_lo, exec_lo, s1
	s_or_b32 s0, s7, vcc_lo
	s_waitcnt lgkmcnt(0)
	s_barrier
	buffer_gl0_inv
	s_and_saveexec_b32 s1, s0
	s_cbranch_execz .LBB0_38
; %bb.37:
	v_mul_hi_u32 v4, 0x5555556, v10
	v_add3_u32 v2, 0, v11, v2
	v_mul_hi_u32_u24_e32 v0, 0x888889, v0
	v_mul_lo_u32 v17, 0xffffffd0, v1
	s_add_i32 s0, 0, 0x1e00
	s_delay_alu instid0(VALU_DEP_4) | instskip(NEXT) | instid1(VALU_DEP_1)
	v_mul_u32_u24_e32 v4, 48, v4
	v_sub_nc_u32_e32 v7, v10, v4
	s_delay_alu instid0(VALU_DEP_1) | instskip(SKIP_1) | instid1(VALU_DEP_2)
	v_mul_u32_u24_e32 v4, 3, v7
	v_add_nc_u32_e32 v8, 0x90, v7
	v_lshlrev_b32_e32 v4, 2, v4
	s_delay_alu instid0(VALU_DEP_2)
	v_mul_lo_u32 v18, v8, v1
	global_load_b96 v[4:6], v4, s[4:5] offset:160
	ds_load_b32 v13, v2
	ds_load_b32 v14, v2 offset:5760
	ds_load_b32 v15, v2 offset:3840
	;; [unrolled: 1-line block ×3, first 2 shown]
	v_mul_u32_u24_e32 v2, 0xc0, v0
	v_add_nc_u32_e32 v0, s6, v3
	v_and_b32_e32 v26, 63, v18
	v_lshrrev_b32_e32 v27, 4, v18
	s_delay_alu instid0(VALU_DEP_4) | instskip(SKIP_1) | instid1(VALU_DEP_4)
	v_or_b32_e32 v3, v2, v7
	v_mul_lo_u32 v7, v7, v1
	v_lshl_add_u32 v26, v26, 2, 0
	s_delay_alu instid0(VALU_DEP_4) | instskip(NEXT) | instid1(VALU_DEP_4)
	v_and_b32_e32 v27, 0xfc, v27
	v_mad_u64_u32 v[1:2], null, s12, v3, v[0:1]
	v_dual_mov_b32 v2, 0 :: v_dual_add_nc_u32 v9, 48, v3
	v_add_nc_u32_e32 v11, 0x60, v3
	v_add_nc_u32_e32 v3, 0x90, v3
	v_lshrrev_b32_e32 v23, 10, v7
	v_and_b32_e32 v24, 63, v7
	v_lshrrev_b32_e32 v25, 4, v7
	v_mad_u64_u32 v[7:8], null, s12, v9, v[0:1]
	v_mov_b32_e32 v8, v2
	v_mad_u64_u32 v[9:10], null, s12, v11, v[0:1]
	v_mov_b32_e32 v10, v2
	v_mad_u64_u32 v[11:12], null, s12, v3, v[0:1]
	v_lshrrev_b32_e32 v3, 10, v18
	v_add_nc_u32_e32 v18, v18, v17
	v_mov_b32_e32 v12, v2
	v_lshlrev_b64 v[0:1], 2, v[1:2]
	v_and_b32_e32 v2, 0xfc, v23
	v_lshl_add_u32 v23, v24, 2, 0
	v_and_b32_e32 v24, 0xfc, v25
	v_and_b32_e32 v25, 0xfc, v3
	v_lshrrev_b32_e32 v28, 10, v18
	v_lshrrev_b32_e32 v30, 4, v18
	v_and_b32_e32 v29, 63, v18
	v_add_nc_u32_e32 v17, v18, v17
	v_add_nc_u32_e32 v18, s0, v2
	v_lshlrev_b64 v[2:3], 2, v[7:8]
	v_lshlrev_b64 v[7:8], 2, v[9:10]
	v_lshlrev_b64 v[9:10], 2, v[11:12]
	v_add_nc_u32_e32 v11, s0, v25
	v_and_b32_e32 v25, 0xfc, v28
	v_add_nc_u32_e32 v12, s0, v27
	v_and_b32_e32 v28, 0xfc, v30
	v_lshl_add_u32 v27, v29, 2, 0
	v_lshrrev_b32_e32 v29, 10, v17
	v_add_nc_u32_e32 v25, s0, v25
	ds_load_b32 v11, v11 offset:512
	ds_load_b32 v26, v26 offset:7680
	;; [unrolled: 1-line block ×3, first 2 shown]
	v_and_b32_e32 v30, 63, v17
	v_lshrrev_b32_e32 v17, 4, v17
	v_add_nc_u32_e32 v28, s0, v28
	v_and_b32_e32 v29, 0xfc, v29
	ds_load_b32 v25, v25 offset:512
	ds_load_b32 v27, v27 offset:7680
	ds_load_b32 v28, v28 offset:256
	v_and_b32_e32 v17, 0xfc, v17
	v_lshl_add_u32 v30, v30, 2, 0
	v_add_nc_u32_e32 v29, s0, v29
	v_add_nc_u32_e32 v24, s0, v24
	s_waitcnt lgkmcnt(7)
	v_lshrrev_b32_e32 v20, 16, v15
	v_add_nc_u32_e32 v17, s0, v17
	ds_load_b32 v29, v29 offset:512
	ds_load_b32 v30, v30 offset:7680
	;; [unrolled: 1-line block ×6, first 2 shown]
	s_waitcnt lgkmcnt(12)
	v_lshrrev_b32_e32 v21, 16, v16
	v_lshrrev_b32_e32 v22, 16, v14
	s_waitcnt lgkmcnt(11)
	v_lshrrev_b32_e32 v36, 16, v11
	s_waitcnt lgkmcnt(10)
	;; [unrolled: 2-line block ×3, first 2 shown]
	v_lshrrev_b32_e32 v32, 16, v12
	v_lshrrev_b32_e32 v19, 16, v13
	v_add_co_u32 v0, vcc_lo, s2, v0
	s_waitcnt lgkmcnt(8)
	v_lshrrev_b32_e32 v37, 16, v25
	v_mul_f16_e32 v33, v31, v32
	v_mul_f16_e32 v32, v26, v32
	s_waitcnt lgkmcnt(7)
	v_lshrrev_b32_e32 v34, 16, v27
	s_waitcnt lgkmcnt(6)
	v_lshrrev_b32_e32 v35, 16, v28
	v_add_co_ci_u32_e32 v1, vcc_lo, s3, v1, vcc_lo
	v_fma_f16 v26, v26, v12, -v33
	v_fmac_f16_e32 v32, v31, v12
	s_delay_alu instid0(VALU_DEP_4)
	v_mul_f16_e32 v12, v34, v35
	v_mul_f16_e32 v31, v27, v35
	s_waitcnt lgkmcnt(4)
	v_lshrrev_b32_e32 v35, 16, v30
	s_waitcnt lgkmcnt(3)
	v_lshrrev_b32_e32 v38, 16, v17
	;; [unrolled: 2-line block ×4, first 2 shown]
	v_mul_f16_e32 v42, v32, v36
	v_mul_f16_e32 v36, v26, v36
	v_fma_f16 v12, v27, v28, -v12
	v_fmac_f16_e32 v31, v34, v28
	v_mul_f16_e32 v27, v35, v38
	v_mul_f16_e32 v28, v30, v38
	;; [unrolled: 1-line block ×4, first 2 shown]
	v_fma_f16 v26, v11, v26, -v42
	v_fmac_f16_e32 v36, v11, v32
	v_mul_f16_e32 v11, v31, v37
	v_mul_f16_e32 v32, v12, v37
	v_lshrrev_b32_e32 v33, 16, v29
	v_fma_f16 v27, v30, v17, -v27
	v_fmac_f16_e32 v28, v35, v17
	v_fma_f16 v17, v23, v24, -v34
	v_fmac_f16_e32 v38, v24, v40
	;; [unrolled: 2-line block ×3, first 2 shown]
	v_mul_f16_e32 v12, v28, v33
	v_mul_f16_e32 v30, v27, v33
	v_lshrrev_b32_e32 v39, 16, v18
	v_add_co_u32 v2, vcc_lo, s2, v2
	s_delay_alu instid0(VALU_DEP_4) | instskip(NEXT) | instid1(VALU_DEP_4)
	v_fma_f16 v12, v29, v27, -v12
	v_fmac_f16_e32 v30, v29, v28
	s_delay_alu instid0(VALU_DEP_4)
	v_mul_f16_e32 v31, v39, v38
	v_add_co_ci_u32_e32 v3, vcc_lo, s3, v3, vcc_lo
	v_add_co_u32 v7, vcc_lo, s2, v7
	v_add_co_ci_u32_e32 v8, vcc_lo, s3, v8, vcc_lo
	s_waitcnt vmcnt(0)
	v_lshrrev_b32_e32 v23, 16, v5
	v_lshrrev_b32_e32 v24, 16, v4
	;; [unrolled: 1-line block ×3, first 2 shown]
	s_delay_alu instid0(VALU_DEP_3) | instskip(NEXT) | instid1(VALU_DEP_3)
	v_mul_f16_e32 v33, v23, v15
	v_mul_f16_e32 v34, v24, v21
	s_delay_alu instid0(VALU_DEP_3)
	v_mul_f16_e32 v35, v25, v22
	v_mul_f16_e32 v23, v23, v20
	;; [unrolled: 1-line block ×4, first 2 shown]
	v_fmac_f16_e32 v33, v5, v20
	v_fma_f16 v16, v4, v16, -v34
	v_fma_f16 v14, v6, v14, -v35
	;; [unrolled: 1-line block ×3, first 2 shown]
	v_fmac_f16_e32 v24, v4, v21
	v_fmac_f16_e32 v25, v6, v22
	v_sub_f16_e32 v6, v19, v33
	v_sub_f16_e32 v14, v16, v14
	;; [unrolled: 1-line block ×3, first 2 shown]
	v_mul_f16_e32 v4, v39, v17
	v_sub_f16_e32 v15, v24, v25
	v_fma_f16 v19, v19, 2.0, -v6
	v_add_f16_e32 v20, v6, v14
	v_fma_f16 v13, v13, 2.0, -v5
	v_fma_f16 v14, v16, 2.0, -v14
	v_sub_f16_e32 v21, v5, v15
	v_fma_f16 v15, v24, 2.0, -v15
	v_fma_f16 v17, v18, v17, -v31
	v_fmac_f16_e32 v4, v18, v38
	v_sub_f16_e32 v14, v13, v14
	v_mul_f16_e32 v16, v21, v36
	v_sub_f16_e32 v15, v19, v15
	v_mul_f16_e32 v18, v20, v36
	v_fma_f16 v6, v6, 2.0, -v20
	v_fma_f16 v5, v5, 2.0, -v21
	v_fmac_f16_e32 v16, v20, v26
	v_mul_f16_e32 v20, v14, v32
	v_fma_f16 v13, v13, 2.0, -v14
	v_fma_f16 v19, v19, 2.0, -v15
	v_fma_f16 v18, v21, v26, -v18
	v_mul_f16_e32 v21, v15, v32
	v_mul_f16_e32 v22, v5, v30
	;; [unrolled: 1-line block ×3, first 2 shown]
	v_fmac_f16_e32 v20, v15, v11
	v_mul_f16_e32 v15, v13, v4
	v_mul_f16_e32 v4, v19, v4
	v_fmac_f16_e32 v22, v6, v12
	v_fma_f16 v6, v5, v12, -v23
	v_fma_f16 v11, v14, v11, -v21
	v_fmac_f16_e32 v15, v19, v17
	v_fma_f16 v12, v13, v17, -v4
	v_add_co_u32 v4, vcc_lo, s2, v9
	v_pack_b32_f16 v6, v6, v22
	v_add_co_ci_u32_e32 v5, vcc_lo, s3, v10, vcc_lo
	s_delay_alu instid0(VALU_DEP_4)
	v_pack_b32_f16 v9, v12, v15
	v_pack_b32_f16 v10, v11, v20
	;; [unrolled: 1-line block ×3, first 2 shown]
	s_clause 0x3
	global_store_b32 v[0:1], v9, off
	global_store_b32 v[2:3], v6, off
	global_store_b32 v[7:8], v10, off
	global_store_b32 v[4:5], v11, off
.LBB0_38:
	s_nop 0
	s_sendmsg sendmsg(MSG_DEALLOC_VGPRS)
	s_endpgm
	.section	.rodata,"a",@progbits
	.p2align	6, 0x0
	.amdhsa_kernel fft_rtc_fwd_len192_factors_8_6_4_wgs_480_tpt_48_half_ip_CI_sbcc_twdbase6_3step_dirReg_intrinsicReadWrite
		.amdhsa_group_segment_fixed_size 0
		.amdhsa_private_segment_fixed_size 0
		.amdhsa_kernarg_size 96
		.amdhsa_user_sgpr_count 15
		.amdhsa_user_sgpr_dispatch_ptr 0
		.amdhsa_user_sgpr_queue_ptr 0
		.amdhsa_user_sgpr_kernarg_segment_ptr 1
		.amdhsa_user_sgpr_dispatch_id 0
		.amdhsa_user_sgpr_private_segment_size 0
		.amdhsa_wavefront_size32 1
		.amdhsa_uses_dynamic_stack 0
		.amdhsa_enable_private_segment 0
		.amdhsa_system_sgpr_workgroup_id_x 1
		.amdhsa_system_sgpr_workgroup_id_y 0
		.amdhsa_system_sgpr_workgroup_id_z 0
		.amdhsa_system_sgpr_workgroup_info 0
		.amdhsa_system_vgpr_workitem_id 0
		.amdhsa_next_free_vgpr 43
		.amdhsa_next_free_sgpr 43
		.amdhsa_reserve_vcc 1
		.amdhsa_float_round_mode_32 0
		.amdhsa_float_round_mode_16_64 0
		.amdhsa_float_denorm_mode_32 3
		.amdhsa_float_denorm_mode_16_64 3
		.amdhsa_dx10_clamp 1
		.amdhsa_ieee_mode 1
		.amdhsa_fp16_overflow 0
		.amdhsa_workgroup_processor_mode 1
		.amdhsa_memory_ordered 1
		.amdhsa_forward_progress 0
		.amdhsa_shared_vgpr_count 0
		.amdhsa_exception_fp_ieee_invalid_op 0
		.amdhsa_exception_fp_denorm_src 0
		.amdhsa_exception_fp_ieee_div_zero 0
		.amdhsa_exception_fp_ieee_overflow 0
		.amdhsa_exception_fp_ieee_underflow 0
		.amdhsa_exception_fp_ieee_inexact 0
		.amdhsa_exception_int_div_zero 0
	.end_amdhsa_kernel
	.text
.Lfunc_end0:
	.size	fft_rtc_fwd_len192_factors_8_6_4_wgs_480_tpt_48_half_ip_CI_sbcc_twdbase6_3step_dirReg_intrinsicReadWrite, .Lfunc_end0-fft_rtc_fwd_len192_factors_8_6_4_wgs_480_tpt_48_half_ip_CI_sbcc_twdbase6_3step_dirReg_intrinsicReadWrite
                                        ; -- End function
	.section	.AMDGPU.csdata,"",@progbits
; Kernel info:
; codeLenInByte = 4972
; NumSgprs: 45
; NumVgprs: 43
; ScratchSize: 0
; MemoryBound: 0
; FloatMode: 240
; IeeeMode: 1
; LDSByteSize: 0 bytes/workgroup (compile time only)
; SGPRBlocks: 5
; VGPRBlocks: 5
; NumSGPRsForWavesPerEU: 45
; NumVGPRsForWavesPerEU: 43
; Occupancy: 15
; WaveLimiterHint : 1
; COMPUTE_PGM_RSRC2:SCRATCH_EN: 0
; COMPUTE_PGM_RSRC2:USER_SGPR: 15
; COMPUTE_PGM_RSRC2:TRAP_HANDLER: 0
; COMPUTE_PGM_RSRC2:TGID_X_EN: 1
; COMPUTE_PGM_RSRC2:TGID_Y_EN: 0
; COMPUTE_PGM_RSRC2:TGID_Z_EN: 0
; COMPUTE_PGM_RSRC2:TIDIG_COMP_CNT: 0
	.text
	.p2alignl 7, 3214868480
	.fill 96, 4, 3214868480
	.type	__hip_cuid_94318edc4f09cf81,@object ; @__hip_cuid_94318edc4f09cf81
	.section	.bss,"aw",@nobits
	.globl	__hip_cuid_94318edc4f09cf81
__hip_cuid_94318edc4f09cf81:
	.byte	0                               ; 0x0
	.size	__hip_cuid_94318edc4f09cf81, 1

	.ident	"AMD clang version 19.0.0git (https://github.com/RadeonOpenCompute/llvm-project roc-6.4.0 25133 c7fe45cf4b819c5991fe208aaa96edf142730f1d)"
	.section	".note.GNU-stack","",@progbits
	.addrsig
	.addrsig_sym __hip_cuid_94318edc4f09cf81
	.amdgpu_metadata
---
amdhsa.kernels:
  - .args:
      - .actual_access:  read_only
        .address_space:  global
        .offset:         0
        .size:           8
        .value_kind:     global_buffer
      - .address_space:  global
        .offset:         8
        .size:           8
        .value_kind:     global_buffer
      - .offset:         16
        .size:           8
        .value_kind:     by_value
      - .actual_access:  read_only
        .address_space:  global
        .offset:         24
        .size:           8
        .value_kind:     global_buffer
      - .actual_access:  read_only
        .address_space:  global
        .offset:         32
        .size:           8
        .value_kind:     global_buffer
      - .offset:         40
        .size:           8
        .value_kind:     by_value
      - .actual_access:  read_only
        .address_space:  global
        .offset:         48
        .size:           8
        .value_kind:     global_buffer
      - .actual_access:  read_only
        .address_space:  global
        .offset:         56
        .size:           8
        .value_kind:     global_buffer
      - .offset:         64
        .size:           4
        .value_kind:     by_value
      - .actual_access:  read_only
        .address_space:  global
        .offset:         72
        .size:           8
        .value_kind:     global_buffer
      - .actual_access:  read_only
        .address_space:  global
        .offset:         80
        .size:           8
        .value_kind:     global_buffer
      - .address_space:  global
        .offset:         88
        .size:           8
        .value_kind:     global_buffer
    .group_segment_fixed_size: 0
    .kernarg_segment_align: 8
    .kernarg_segment_size: 96
    .language:       OpenCL C
    .language_version:
      - 2
      - 0
    .max_flat_workgroup_size: 480
    .name:           fft_rtc_fwd_len192_factors_8_6_4_wgs_480_tpt_48_half_ip_CI_sbcc_twdbase6_3step_dirReg_intrinsicReadWrite
    .private_segment_fixed_size: 0
    .sgpr_count:     45
    .sgpr_spill_count: 0
    .symbol:         fft_rtc_fwd_len192_factors_8_6_4_wgs_480_tpt_48_half_ip_CI_sbcc_twdbase6_3step_dirReg_intrinsicReadWrite.kd
    .uniform_work_group_size: 1
    .uses_dynamic_stack: false
    .vgpr_count:     43
    .vgpr_spill_count: 0
    .wavefront_size: 32
    .workgroup_processor_mode: 1
amdhsa.target:   amdgcn-amd-amdhsa--gfx1100
amdhsa.version:
  - 1
  - 2
...

	.end_amdgpu_metadata
